;; amdgpu-corpus repo=ROCm/rocFFT kind=compiled arch=gfx1030 opt=O3
	.text
	.amdgcn_target "amdgcn-amd-amdhsa--gfx1030"
	.amdhsa_code_object_version 6
	.protected	fft_rtc_back_len352_factors_11_2_16_wgs_64_tpt_32_dp_ip_CI_unitstride_sbrr_dirReg ; -- Begin function fft_rtc_back_len352_factors_11_2_16_wgs_64_tpt_32_dp_ip_CI_unitstride_sbrr_dirReg
	.globl	fft_rtc_back_len352_factors_11_2_16_wgs_64_tpt_32_dp_ip_CI_unitstride_sbrr_dirReg
	.p2align	8
	.type	fft_rtc_back_len352_factors_11_2_16_wgs_64_tpt_32_dp_ip_CI_unitstride_sbrr_dirReg,@function
fft_rtc_back_len352_factors_11_2_16_wgs_64_tpt_32_dp_ip_CI_unitstride_sbrr_dirReg: ; @fft_rtc_back_len352_factors_11_2_16_wgs_64_tpt_32_dp_ip_CI_unitstride_sbrr_dirReg
; %bb.0:
	s_clause 0x2
	s_load_dwordx4 s[8:11], s[4:5], 0x0
	s_load_dwordx2 s[2:3], s[4:5], 0x50
	s_load_dwordx2 s[12:13], s[4:5], 0x18
	v_lshrrev_b32_e32 v1, 5, v0
	v_mov_b32_e32 v3, 0
	v_lshl_or_b32 v5, s6, 1, v1
	v_mov_b32_e32 v1, 0
	v_mov_b32_e32 v6, v3
	v_mov_b32_e32 v2, 0
	s_waitcnt lgkmcnt(0)
	v_cmp_lt_u64_e64 s0, s[10:11], 2
	s_and_b32 vcc_lo, exec_lo, s0
	s_cbranch_vccnz .LBB0_8
; %bb.1:
	s_load_dwordx2 s[0:1], s[4:5], 0x10
	v_mov_b32_e32 v1, 0
	s_add_u32 s6, s12, 8
	v_mov_b32_e32 v2, 0
	s_addc_u32 s7, s13, 0
	s_mov_b64 s[16:17], 1
	s_waitcnt lgkmcnt(0)
	s_add_u32 s14, s0, 8
	s_addc_u32 s15, s1, 0
.LBB0_2:                                ; =>This Inner Loop Header: Depth=1
	s_load_dwordx2 s[18:19], s[14:15], 0x0
                                        ; implicit-def: $vgpr7_vgpr8
	s_mov_b32 s0, exec_lo
	s_waitcnt lgkmcnt(0)
	v_or_b32_e32 v4, s19, v6
	v_cmpx_ne_u64_e32 0, v[3:4]
	s_xor_b32 s1, exec_lo, s0
	s_cbranch_execz .LBB0_4
; %bb.3:                                ;   in Loop: Header=BB0_2 Depth=1
	v_cvt_f32_u32_e32 v4, s18
	v_cvt_f32_u32_e32 v7, s19
	s_sub_u32 s0, 0, s18
	s_subb_u32 s20, 0, s19
	v_fmac_f32_e32 v4, 0x4f800000, v7
	v_rcp_f32_e32 v4, v4
	v_mul_f32_e32 v4, 0x5f7ffffc, v4
	v_mul_f32_e32 v7, 0x2f800000, v4
	v_trunc_f32_e32 v7, v7
	v_fmac_f32_e32 v4, 0xcf800000, v7
	v_cvt_u32_f32_e32 v7, v7
	v_cvt_u32_f32_e32 v4, v4
	v_mul_lo_u32 v8, s0, v7
	v_mul_hi_u32 v9, s0, v4
	v_mul_lo_u32 v10, s20, v4
	v_add_nc_u32_e32 v8, v9, v8
	v_mul_lo_u32 v9, s0, v4
	v_add_nc_u32_e32 v8, v8, v10
	v_mul_hi_u32 v10, v4, v9
	v_mul_lo_u32 v11, v4, v8
	v_mul_hi_u32 v12, v4, v8
	v_mul_hi_u32 v13, v7, v9
	v_mul_lo_u32 v9, v7, v9
	v_mul_hi_u32 v14, v7, v8
	v_mul_lo_u32 v8, v7, v8
	v_add_co_u32 v10, vcc_lo, v10, v11
	v_add_co_ci_u32_e32 v11, vcc_lo, 0, v12, vcc_lo
	v_add_co_u32 v9, vcc_lo, v10, v9
	v_add_co_ci_u32_e32 v9, vcc_lo, v11, v13, vcc_lo
	v_add_co_ci_u32_e32 v10, vcc_lo, 0, v14, vcc_lo
	v_add_co_u32 v8, vcc_lo, v9, v8
	v_add_co_ci_u32_e32 v9, vcc_lo, 0, v10, vcc_lo
	v_add_co_u32 v4, vcc_lo, v4, v8
	v_add_co_ci_u32_e32 v7, vcc_lo, v7, v9, vcc_lo
	v_mul_hi_u32 v8, s0, v4
	v_mul_lo_u32 v10, s20, v4
	v_mul_lo_u32 v9, s0, v7
	v_add_nc_u32_e32 v8, v8, v9
	v_mul_lo_u32 v9, s0, v4
	v_add_nc_u32_e32 v8, v8, v10
	v_mul_hi_u32 v10, v4, v9
	v_mul_lo_u32 v11, v4, v8
	v_mul_hi_u32 v12, v4, v8
	v_mul_hi_u32 v13, v7, v9
	v_mul_lo_u32 v9, v7, v9
	v_mul_hi_u32 v14, v7, v8
	v_mul_lo_u32 v8, v7, v8
	v_add_co_u32 v10, vcc_lo, v10, v11
	v_add_co_ci_u32_e32 v11, vcc_lo, 0, v12, vcc_lo
	v_add_co_u32 v9, vcc_lo, v10, v9
	v_add_co_ci_u32_e32 v9, vcc_lo, v11, v13, vcc_lo
	v_add_co_ci_u32_e32 v10, vcc_lo, 0, v14, vcc_lo
	v_add_co_u32 v8, vcc_lo, v9, v8
	v_add_co_ci_u32_e32 v9, vcc_lo, 0, v10, vcc_lo
	v_add_co_u32 v4, vcc_lo, v4, v8
	v_add_co_ci_u32_e32 v11, vcc_lo, v7, v9, vcc_lo
	v_mul_hi_u32 v13, v5, v4
	v_mad_u64_u32 v[9:10], null, v6, v4, 0
	v_mad_u64_u32 v[7:8], null, v5, v11, 0
	;; [unrolled: 1-line block ×3, first 2 shown]
	v_add_co_u32 v4, vcc_lo, v13, v7
	v_add_co_ci_u32_e32 v7, vcc_lo, 0, v8, vcc_lo
	v_add_co_u32 v4, vcc_lo, v4, v9
	v_add_co_ci_u32_e32 v4, vcc_lo, v7, v10, vcc_lo
	v_add_co_ci_u32_e32 v7, vcc_lo, 0, v12, vcc_lo
	v_add_co_u32 v4, vcc_lo, v4, v11
	v_add_co_ci_u32_e32 v9, vcc_lo, 0, v7, vcc_lo
	v_mul_lo_u32 v10, s19, v4
	v_mad_u64_u32 v[7:8], null, s18, v4, 0
	v_mul_lo_u32 v11, s18, v9
	v_sub_co_u32 v7, vcc_lo, v5, v7
	v_add3_u32 v8, v8, v11, v10
	v_sub_nc_u32_e32 v10, v6, v8
	v_subrev_co_ci_u32_e64 v10, s0, s19, v10, vcc_lo
	v_add_co_u32 v11, s0, v4, 2
	v_add_co_ci_u32_e64 v12, s0, 0, v9, s0
	v_sub_co_u32 v13, s0, v7, s18
	v_sub_co_ci_u32_e32 v8, vcc_lo, v6, v8, vcc_lo
	v_subrev_co_ci_u32_e64 v10, s0, 0, v10, s0
	v_cmp_le_u32_e32 vcc_lo, s18, v13
	v_cmp_eq_u32_e64 s0, s19, v8
	v_cndmask_b32_e64 v13, 0, -1, vcc_lo
	v_cmp_le_u32_e32 vcc_lo, s19, v10
	v_cndmask_b32_e64 v14, 0, -1, vcc_lo
	v_cmp_le_u32_e32 vcc_lo, s18, v7
	;; [unrolled: 2-line block ×3, first 2 shown]
	v_cndmask_b32_e64 v15, 0, -1, vcc_lo
	v_cmp_eq_u32_e32 vcc_lo, s19, v10
	v_cndmask_b32_e64 v7, v15, v7, s0
	v_cndmask_b32_e32 v10, v14, v13, vcc_lo
	v_add_co_u32 v13, vcc_lo, v4, 1
	v_add_co_ci_u32_e32 v14, vcc_lo, 0, v9, vcc_lo
	v_cmp_ne_u32_e32 vcc_lo, 0, v10
	v_cndmask_b32_e32 v8, v14, v12, vcc_lo
	v_cndmask_b32_e32 v10, v13, v11, vcc_lo
	v_cmp_ne_u32_e32 vcc_lo, 0, v7
	v_cndmask_b32_e32 v8, v9, v8, vcc_lo
	v_cndmask_b32_e32 v7, v4, v10, vcc_lo
.LBB0_4:                                ;   in Loop: Header=BB0_2 Depth=1
	s_andn2_saveexec_b32 s0, s1
	s_cbranch_execz .LBB0_6
; %bb.5:                                ;   in Loop: Header=BB0_2 Depth=1
	v_cvt_f32_u32_e32 v4, s18
	s_sub_i32 s1, 0, s18
	v_rcp_iflag_f32_e32 v4, v4
	v_mul_f32_e32 v4, 0x4f7ffffe, v4
	v_cvt_u32_f32_e32 v4, v4
	v_mul_lo_u32 v7, s1, v4
	v_mul_hi_u32 v7, v4, v7
	v_add_nc_u32_e32 v4, v4, v7
	v_mul_hi_u32 v4, v5, v4
	v_mul_lo_u32 v7, v4, s18
	v_add_nc_u32_e32 v8, 1, v4
	v_sub_nc_u32_e32 v7, v5, v7
	v_subrev_nc_u32_e32 v9, s18, v7
	v_cmp_le_u32_e32 vcc_lo, s18, v7
	v_cndmask_b32_e32 v7, v7, v9, vcc_lo
	v_cndmask_b32_e32 v4, v4, v8, vcc_lo
	v_cmp_le_u32_e32 vcc_lo, s18, v7
	v_add_nc_u32_e32 v8, 1, v4
	v_cndmask_b32_e32 v7, v4, v8, vcc_lo
	v_mov_b32_e32 v8, v3
.LBB0_6:                                ;   in Loop: Header=BB0_2 Depth=1
	s_or_b32 exec_lo, exec_lo, s0
	s_load_dwordx2 s[0:1], s[6:7], 0x0
	v_mul_lo_u32 v4, v8, s18
	v_mul_lo_u32 v11, v7, s19
	v_mad_u64_u32 v[9:10], null, v7, s18, 0
	s_add_u32 s16, s16, 1
	s_addc_u32 s17, s17, 0
	s_add_u32 s6, s6, 8
	s_addc_u32 s7, s7, 0
	;; [unrolled: 2-line block ×3, first 2 shown]
	v_add3_u32 v4, v10, v11, v4
	v_sub_co_u32 v5, vcc_lo, v5, v9
	v_sub_co_ci_u32_e32 v4, vcc_lo, v6, v4, vcc_lo
	s_waitcnt lgkmcnt(0)
	v_mul_lo_u32 v6, s1, v5
	v_mul_lo_u32 v4, s0, v4
	v_mad_u64_u32 v[1:2], null, s0, v5, v[1:2]
	v_cmp_ge_u64_e64 s0, s[16:17], s[10:11]
	s_and_b32 vcc_lo, exec_lo, s0
	v_add3_u32 v2, v6, v2, v4
	s_cbranch_vccnz .LBB0_9
; %bb.7:                                ;   in Loop: Header=BB0_2 Depth=1
	v_mov_b32_e32 v5, v7
	v_mov_b32_e32 v6, v8
	s_branch .LBB0_2
.LBB0_8:
	v_mov_b32_e32 v8, v6
	v_mov_b32_e32 v7, v5
.LBB0_9:
	s_lshl_b64 s[0:1], s[10:11], 3
	v_and_b32_e32 v3, 32, v0
	s_add_u32 s0, s12, s0
	s_addc_u32 s1, s13, s1
	v_and_b32_e32 v69, 31, v0
	s_load_dwordx2 s[0:1], s[0:1], 0x0
	s_load_dwordx2 s[4:5], s[4:5], 0x20
	v_or_b32_e32 v47, 32, v69
	v_or_b32_e32 v46, 64, v69
	;; [unrolled: 1-line block ×5, first 2 shown]
	s_waitcnt lgkmcnt(0)
	v_mul_lo_u32 v4, s0, v8
	v_mul_lo_u32 v5, s1, v7
	v_mad_u64_u32 v[0:1], null, s0, v7, v[1:2]
	v_cmp_gt_u64_e32 vcc_lo, s[4:5], v[7:8]
	v_cmp_le_u64_e64 s1, s[4:5], v[7:8]
	v_cmp_ne_u32_e64 s0, 0, v3
	v_add3_u32 v1, v5, v1, v4
	s_and_saveexec_b32 s4, s1
	s_xor_b32 s1, exec_lo, s4
; %bb.10:
	v_or_b32_e32 v47, 32, v69
	v_or_b32_e32 v46, 64, v69
	;; [unrolled: 1-line block ×5, first 2 shown]
; %bb.11:
	s_or_saveexec_b32 s1, s1
	v_cndmask_b32_e64 v2, 0, 0x160, s0
	v_lshlrev_b64 v[64:65], 4, v[0:1]
	v_lshlrev_b32_e32 v66, 4, v69
	v_lshlrev_b32_e32 v52, 4, v2
	s_xor_b32 exec_lo, exec_lo, s1
	s_cbranch_execz .LBB0_13
; %bb.12:
	v_add_co_u32 v27, s0, s2, v64
	v_add_co_ci_u32_e64 v28, s0, s3, v65, s0
	v_lshlrev_b32_e32 v11, 4, v44
	v_add_co_u32 v0, s0, v27, v66
	v_add_co_ci_u32_e64 v1, s0, 0, v28, s0
	v_lshlrev_b32_e32 v12, 4, v53
	v_add_co_u32 v19, s0, v27, v11
	v_add_co_ci_u32_e64 v20, s0, 0, v28, s0
	s_clause 0x1
	global_load_dwordx4 v[3:6], v[0:1], off
	global_load_dwordx4 v[7:10], v[0:1], off offset:512
	v_add_co_u32 v23, s0, v27, v12
	s_clause 0x1
	global_load_dwordx4 v[11:14], v[0:1], off offset:1024
	global_load_dwordx4 v[15:18], v[0:1], off offset:1536
	v_or_b32_e32 v0, 0xc00, v66
	v_or_b32_e32 v29, 0xe00, v66
	v_add_co_ci_u32_e64 v24, s0, 0, v28, s0
	v_or_b32_e32 v30, 0x1000, v66
	v_add_co_u32 v0, s0, v27, v0
	v_add_co_ci_u32_e64 v1, s0, 0, v28, s0
	v_add_co_u32 v31, s0, v27, v29
	v_or_b32_e32 v29, 0x1200, v66
	v_add_co_ci_u32_e64 v32, s0, 0, v28, s0
	v_add_co_u32 v35, s0, v27, v30
	v_or_b32_e32 v30, 0x1400, v66
	v_add_co_ci_u32_e64 v36, s0, 0, v28, s0
	v_add_co_u32 v39, s0, v27, v29
	v_add_co_ci_u32_e64 v40, s0, 0, v28, s0
	v_add_co_u32 v48, s0, v27, v30
	v_add_co_ci_u32_e64 v49, s0, 0, v28, s0
	s_clause 0x6
	global_load_dwordx4 v[19:22], v[19:20], off
	global_load_dwordx4 v[23:26], v[23:24], off
	;; [unrolled: 1-line block ×7, first 2 shown]
	v_or_b32_e32 v0, v2, v69
	v_add3_u32 v1, 0, v52, v66
	v_lshl_add_u32 v0, v0, 4, 0
	s_waitcnt vmcnt(10)
	ds_write_b128 v0, v[3:6]
	s_waitcnt vmcnt(9)
	ds_write_b128 v1, v[7:10] offset:512
	s_waitcnt vmcnt(8)
	ds_write_b128 v1, v[11:14] offset:1024
	;; [unrolled: 2-line block ×10, first 2 shown]
.LBB0_13:
	s_or_b32 exec_lo, exec_lo, s1
	v_add_nc_u32_e32 v30, 0, v52
	v_add3_u32 v68, 0, v66, v52
	s_waitcnt lgkmcnt(0)
	s_barrier
	buffer_gl0_inv
	v_add_nc_u32_e32 v67, v30, v66
	s_mov_b32 s14, 0xf8bb580b
	s_mov_b32 s15, 0xbfe14ced
	;; [unrolled: 1-line block ×3, first 2 shown]
	ds_read_b128 v[8:11], v68 offset:512
	ds_read_b128 v[0:3], v67
	ds_read_b128 v[31:34], v68 offset:1024
	ds_read_b128 v[18:21], v68 offset:1536
	s_mov_b32 s6, 0x43842ef
	s_mov_b32 s0, 0xbb3a28a1
	;; [unrolled: 1-line block ×18, first 2 shown]
	s_waitcnt lgkmcnt(2)
	v_add_f64 v[4:5], v[0:1], v[8:9]
	v_add_f64 v[6:7], v[2:3], v[10:11]
	s_mov_b32 s25, 0x3fed1bb4
	s_mov_b32 s27, 0x3fefac9e
	;; [unrolled: 1-line block ×9, first 2 shown]
	s_waitcnt lgkmcnt(1)
	v_add_f64 v[12:13], v[4:5], v[31:32]
	v_add_f64 v[14:15], v[6:7], v[33:34]
	ds_read_b128 v[22:25], v68 offset:2048
	ds_read_b128 v[4:7], v68 offset:5120
	ds_read_b128 v[35:38], v68 offset:4096
	ds_read_b128 v[39:42], v68 offset:3072
	ds_read_b128 v[48:51], v68 offset:3584
	ds_read_b128 v[54:57], v68 offset:4608
	ds_read_b128 v[58:61], v68 offset:2560
	s_waitcnt lgkmcnt(0)
	s_barrier
	buffer_gl0_inv
	v_add_f64 v[62:63], v[10:11], -v[6:7]
	v_add_f64 v[12:13], v[12:13], v[18:19]
	v_add_f64 v[14:15], v[14:15], v[20:21]
	;; [unrolled: 1-line block ×5, first 2 shown]
	v_add_f64 v[28:29], v[20:21], -v[37:38]
	v_add_f64 v[76:77], v[8:9], v[4:5]
	v_add_f64 v[78:79], v[8:9], -v[4:5]
	v_add_f64 v[80:81], v[33:34], -v[56:57]
	v_add_f64 v[82:83], v[24:25], -v[50:51]
	v_add_f64 v[8:9], v[58:59], v[39:40]
	v_add_f64 v[20:21], v[60:61], v[41:42]
	;; [unrolled: 1-line block ×4, first 2 shown]
	v_mul_f64 v[84:85], v[62:63], s[14:15]
	v_add_f64 v[70:71], v[12:13], v[22:23]
	v_add_f64 v[72:73], v[14:15], v[24:25]
	v_add_f64 v[14:15], v[18:19], -v[35:36]
	v_add_f64 v[18:19], v[24:25], v[50:51]
	v_add_f64 v[12:13], v[58:59], -v[39:40]
	v_add_f64 v[24:25], v[60:61], -v[41:42]
	v_mul_f64 v[86:87], v[74:75], s[20:21]
	v_mul_f64 v[88:89], v[62:63], s[6:7]
	;; [unrolled: 1-line block ×13, first 2 shown]
	v_add_f64 v[22:23], v[22:23], -v[48:49]
	v_mul_f64 v[110:111], v[28:29], s[6:7]
	v_fma_f64 v[112:113], v[76:77], s[20:21], v[84:85]
	v_add_f64 v[58:59], v[70:71], v[58:59]
	v_add_f64 v[60:61], v[72:73], v[60:61]
	v_mul_f64 v[70:71], v[62:63], s[10:11]
	v_add_f64 v[72:73], v[31:32], v[54:55]
	v_mul_f64 v[62:63], v[62:63], s[4:5]
	v_add_f64 v[31:32], v[31:32], -v[54:55]
	v_fma_f64 v[84:85], v[76:77], s[20:21], -v[84:85]
	v_fma_f64 v[114:115], v[76:77], s[12:13], v[88:89]
	v_fma_f64 v[88:89], v[76:77], s[12:13], -v[88:89]
	v_fma_f64 v[116:117], v[78:79], s[24:25], v[90:91]
	v_fma_f64 v[118:119], v[76:77], s[22:23], v[92:93]
	;; [unrolled: 1-line block ×3, first 2 shown]
	v_fma_f64 v[92:93], v[76:77], s[22:23], -v[92:93]
	v_fma_f64 v[120:121], v[78:79], s[26:27], v[94:95]
	v_fma_f64 v[94:95], v[78:79], s[6:7], v[94:95]
	;; [unrolled: 1-line block ×4, first 2 shown]
	v_add_f64 v[112:113], v[0:1], v[112:113]
	v_add_f64 v[39:40], v[58:59], v[39:40]
	;; [unrolled: 1-line block ×3, first 2 shown]
	v_fma_f64 v[58:59], v[76:77], s[16:17], v[70:71]
	v_fma_f64 v[60:61], v[76:77], s[16:17], -v[70:71]
	v_fma_f64 v[70:71], v[78:79], s[28:29], v[86:87]
	v_fma_f64 v[86:87], v[78:79], s[14:15], v[86:87]
	;; [unrolled: 1-line block ×3, first 2 shown]
	v_fma_f64 v[62:63], v[76:77], s[18:19], -v[62:63]
	v_fma_f64 v[76:77], v[78:79], s[34:35], v[74:75]
	v_fma_f64 v[74:75], v[78:79], s[4:5], v[74:75]
	;; [unrolled: 1-line block ×4, first 2 shown]
	v_add_f64 v[84:85], v[0:1], v[84:85]
	v_add_f64 v[116:117], v[2:3], v[116:117]
	;; [unrolled: 1-line block ×12, first 2 shown]
	v_fma_f64 v[48:49], v[72:73], s[22:23], v[102:103]
	v_fma_f64 v[50:51], v[31:32], s[30:31], v[104:105]
	v_add_f64 v[70:71], v[2:3], v[70:71]
	v_add_f64 v[86:87], v[2:3], v[86:87]
	;; [unrolled: 1-line block ×9, first 2 shown]
	v_mul_f64 v[62:63], v[26:27], s[12:13]
	v_fma_f64 v[74:75], v[72:73], s[22:23], -v[102:103]
	v_mul_f64 v[102:103], v[28:29], s[34:35]
	v_fma_f64 v[104:105], v[31:32], s[0:1], v[104:105]
	v_add_f64 v[78:79], v[78:79], v[112:113]
	v_mul_f64 v[112:113], v[26:27], s[18:19]
	v_add_f64 v[35:36], v[39:40], v[35:36]
	v_add_f64 v[37:38], v[41:42], v[37:38]
	v_fma_f64 v[39:40], v[72:73], s[18:19], v[106:107]
	v_fma_f64 v[41:42], v[31:32], s[4:5], v[108:109]
	v_fma_f64 v[106:107], v[72:73], s[18:19], -v[106:107]
	v_add_f64 v[70:71], v[126:127], v[70:71]
	v_mul_f64 v[126:127], v[28:29], s[24:25]
	v_fma_f64 v[108:109], v[31:32], s[34:35], v[108:109]
	v_add_f64 v[48:49], v[48:49], v[58:59]
	v_fma_f64 v[58:59], v[16:17], s[12:13], v[110:111]
	v_add_f64 v[50:51], v[50:51], v[116:117]
	v_mul_f64 v[116:117], v[26:27], s[16:17]
	v_add_f64 v[60:61], v[74:75], v[60:61]
	v_fma_f64 v[74:75], v[14:15], s[26:27], v[62:63]
	v_add_f64 v[90:91], v[104:105], v[90:91]
	v_fma_f64 v[104:105], v[16:17], s[18:19], v[102:103]
	v_fma_f64 v[102:103], v[16:17], s[18:19], -v[102:103]
	v_add_f64 v[35:36], v[35:36], v[54:55]
	v_add_f64 v[37:38], v[37:38], v[56:57]
	;; [unrolled: 1-line block ×3, first 2 shown]
	v_mul_f64 v[114:115], v[82:83], s[0:1]
	v_add_f64 v[41:42], v[41:42], v[120:121]
	v_fma_f64 v[120:121], v[14:15], s[4:5], v[112:113]
	v_add_f64 v[88:89], v[106:107], v[88:89]
	v_mul_f64 v[106:107], v[18:19], s[22:23]
	v_fma_f64 v[112:113], v[14:15], s[34:35], v[112:113]
	v_add_f64 v[94:95], v[108:109], v[94:95]
	v_fma_f64 v[108:109], v[16:17], s[16:17], v[126:127]
	v_add_f64 v[58:59], v[58:59], v[78:79]
	v_fma_f64 v[78:79], v[14:15], s[10:11], v[116:117]
	v_fma_f64 v[126:127], v[16:17], s[16:17], -v[126:127]
	v_fma_f64 v[116:117], v[14:15], s[24:25], v[116:117]
	v_add_f64 v[70:71], v[74:75], v[70:71]
	v_mul_f64 v[74:75], v[82:83], s[26:27]
	v_add_f64 v[48:49], v[104:105], v[48:49]
	v_mul_f64 v[104:105], v[18:19], s[12:13]
	;; [unrolled: 2-line block ×3, first 2 shown]
	v_mul_f64 v[28:29], v[28:29], s[0:1]
	v_add_f64 v[50:51], v[120:121], v[50:51]
	v_fma_f64 v[120:121], v[10:11], s[22:23], v[114:115]
	v_fma_f64 v[102:103], v[22:23], s[30:31], v[106:107]
	v_add_f64 v[90:91], v[112:113], v[90:91]
	v_add_f64 v[39:40], v[108:109], v[39:40]
	v_mul_f64 v[108:109], v[82:83], s[14:15]
	v_add_f64 v[41:42], v[78:79], v[41:42]
	v_add_f64 v[78:79], v[126:127], v[88:89]
	v_mul_f64 v[126:127], v[18:19], s[20:21]
	v_fma_f64 v[88:89], v[10:11], s[12:13], v[74:75]
	v_fma_f64 v[74:75], v[10:11], s[12:13], -v[74:75]
	v_fma_f64 v[112:113], v[22:23], s[6:7], v[104:105]
	v_add_f64 v[58:59], v[120:121], v[58:59]
	v_mul_f64 v[120:121], v[80:81], s[26:27]
	v_add_f64 v[70:71], v[102:103], v[70:71]
	v_fma_f64 v[102:103], v[22:23], s[26:27], v[104:105]
	v_mul_f64 v[104:105], v[33:34], s[12:13]
	v_mul_f64 v[80:81], v[80:81], s[28:29]
	;; [unrolled: 1-line block ×3, first 2 shown]
	v_add_f64 v[48:49], v[88:89], v[48:49]
	v_fma_f64 v[88:89], v[10:11], s[20:21], v[108:109]
	v_add_f64 v[50:51], v[112:113], v[50:51]
	v_fma_f64 v[112:113], v[22:23], s[28:29], v[126:127]
	v_add_f64 v[60:61], v[74:75], v[60:61]
	v_fma_f64 v[108:109], v[10:11], s[20:21], -v[108:109]
	v_fma_f64 v[126:127], v[22:23], s[14:15], v[126:127]
	v_fma_f64 v[54:55], v[72:73], s[12:13], v[120:121]
	v_fma_f64 v[120:121], v[72:73], s[12:13], -v[120:121]
	v_add_f64 v[74:75], v[102:103], v[90:91]
	v_fma_f64 v[90:91], v[31:32], s[6:7], v[104:105]
	v_mul_f64 v[102:103], v[26:27], s[20:21]
	v_fma_f64 v[104:105], v[31:32], s[26:27], v[104:105]
	v_mul_f64 v[26:27], v[26:27], s[22:23]
	v_add_f64 v[39:40], v[88:89], v[39:40]
	v_add_f64 v[88:89], v[116:117], v[94:95]
	;; [unrolled: 1-line block ×3, first 2 shown]
	v_fma_f64 v[94:95], v[16:17], s[20:21], v[56:57]
	v_mul_f64 v[112:113], v[82:83], s[4:5]
	v_fma_f64 v[56:57], v[16:17], s[20:21], -v[56:57]
	v_add_f64 v[78:79], v[108:109], v[78:79]
	v_fma_f64 v[108:109], v[16:17], s[22:23], v[28:29]
	v_fma_f64 v[28:29], v[16:17], s[22:23], -v[28:29]
	v_fma_f64 v[16:17], v[16:17], s[12:13], -v[110:111]
	v_add_f64 v[54:55], v[54:55], v[118:119]
	v_mul_f64 v[118:119], v[18:19], s[18:19]
	v_add_f64 v[92:93], v[120:121], v[92:93]
	v_add_f64 v[90:91], v[90:91], v[122:123]
	v_fma_f64 v[116:117], v[14:15], s[28:29], v[102:103]
	v_fma_f64 v[122:123], v[72:73], s[20:21], v[80:81]
	v_fma_f64 v[80:81], v[72:73], s[20:21], -v[80:81]
	v_fma_f64 v[72:73], v[72:73], s[16:17], -v[98:99]
	v_fma_f64 v[98:99], v[31:32], s[14:15], v[33:34]
	v_fma_f64 v[33:34], v[31:32], s[28:29], v[33:34]
	;; [unrolled: 1-line block ×3, first 2 shown]
	v_add_f64 v[96:97], v[104:105], v[96:97]
	v_fma_f64 v[102:103], v[14:15], s[14:15], v[102:103]
	v_mul_f64 v[18:19], v[18:19], s[16:17]
	v_add_f64 v[88:89], v[126:127], v[88:89]
	v_add_f64 v[54:55], v[94:95], v[54:55]
	v_fma_f64 v[94:95], v[10:11], s[18:19], v[112:113]
	v_fma_f64 v[100:101], v[22:23], s[34:35], v[118:119]
	v_add_f64 v[56:57], v[56:57], v[92:93]
	v_add_f64 v[90:91], v[116:117], v[90:91]
	;; [unrolled: 1-line block ×4, first 2 shown]
	v_mul_f64 v[80:81], v[82:83], s[24:25]
	v_add_f64 v[76:77], v[98:99], v[76:77]
	v_fma_f64 v[82:83], v[14:15], s[30:31], v[26:27]
	v_add_f64 v[2:3], v[33:34], v[2:3]
	v_fma_f64 v[26:27], v[14:15], s[0:1], v[26:27]
	v_add_f64 v[33:34], v[72:73], v[84:85]
	v_add_f64 v[31:32], v[31:32], v[86:87]
	v_fma_f64 v[14:15], v[14:15], s[6:7], v[62:63]
	v_mul_f64 v[72:73], v[24:25], s[4:5]
	v_mul_f64 v[84:85], v[20:21], s[18:19]
	v_fma_f64 v[92:93], v[10:11], s[18:19], -v[112:113]
	v_add_f64 v[86:87], v[102:103], v[96:97]
	v_fma_f64 v[96:97], v[22:23], s[4:5], v[118:119]
	v_mul_f64 v[98:99], v[20:21], s[20:21]
	v_mul_f64 v[102:103], v[20:21], s[16:17]
	v_add_f64 v[54:55], v[94:95], v[54:55]
	v_add_f64 v[62:63], v[100:101], v[90:91]
	v_mul_f64 v[90:91], v[24:25], s[28:29]
	v_add_f64 v[94:95], v[108:109], v[104:105]
	v_fma_f64 v[100:101], v[10:11], s[16:17], v[80:81]
	v_add_f64 v[0:1], v[28:29], v[0:1]
	v_add_f64 v[76:77], v[82:83], v[76:77]
	v_mul_f64 v[28:29], v[24:25], s[0:1]
	v_fma_f64 v[82:83], v[22:23], s[10:11], v[18:19]
	v_add_f64 v[2:3], v[26:27], v[2:3]
	v_fma_f64 v[26:27], v[10:11], s[16:17], -v[80:81]
	v_mul_f64 v[80:81], v[20:21], s[22:23]
	v_add_f64 v[16:17], v[16:17], v[33:34]
	v_mul_f64 v[33:34], v[24:25], s[24:25]
	v_fma_f64 v[18:19], v[22:23], s[24:25], v[18:19]
	v_add_f64 v[14:15], v[14:15], v[31:32]
	v_fma_f64 v[22:23], v[22:23], s[0:1], v[106:107]
	v_mul_f64 v[24:25], v[24:25], s[6:7]
	v_mul_f64 v[20:21], v[20:21], s[12:13]
	v_fma_f64 v[10:11], v[10:11], s[22:23], -v[114:115]
	v_fma_f64 v[31:32], v[8:9], s[18:19], v[72:73]
	v_add_f64 v[56:57], v[92:93], v[56:57]
	v_fma_f64 v[92:93], v[12:13], s[34:35], v[84:85]
	v_add_f64 v[86:87], v[96:97], v[86:87]
	v_fma_f64 v[96:97], v[8:9], s[20:21], v[90:91]
	v_fma_f64 v[112:113], v[12:13], s[10:11], v[102:103]
	v_add_f64 v[94:95], v[100:101], v[94:95]
	v_fma_f64 v[100:101], v[12:13], s[14:15], v[98:99]
	v_fma_f64 v[102:103], v[12:13], s[24:25], v[102:103]
	v_fma_f64 v[90:91], v[8:9], s[20:21], -v[90:91]
	v_add_f64 v[76:77], v[82:83], v[76:77]
	v_fma_f64 v[82:83], v[8:9], s[22:23], v[28:29]
	v_add_f64 v[104:105], v[26:27], v[0:1]
	v_fma_f64 v[26:27], v[12:13], s[30:31], v[80:81]
	v_fma_f64 v[28:29], v[8:9], s[22:23], -v[28:29]
	v_fma_f64 v[108:109], v[8:9], s[16:17], v[33:34]
	v_add_f64 v[106:107], v[18:19], v[2:3]
	v_fma_f64 v[33:34], v[8:9], s[16:17], -v[33:34]
	v_add_f64 v[114:115], v[22:23], v[14:15]
	v_fma_f64 v[22:23], v[8:9], s[12:13], v[24:25]
	v_fma_f64 v[116:117], v[12:13], s[26:27], v[20:21]
	v_fma_f64 v[118:119], v[8:9], s[12:13], -v[24:25]
	v_fma_f64 v[120:121], v[12:13], s[6:7], v[20:21]
	v_fma_f64 v[80:81], v[12:13], s[0:1], v[80:81]
	;; [unrolled: 1-line block ×3, first 2 shown]
	v_add_f64 v[110:111], v[10:11], v[16:17]
	v_fma_f64 v[72:73], v[8:9], s[18:19], -v[72:73]
	v_fma_f64 v[84:85], v[12:13], s[4:5], v[84:85]
	v_add_f64 v[0:1], v[35:36], v[4:5]
	v_add_f64 v[2:3], v[37:38], v[6:7]
	;; [unrolled: 1-line block ×22, first 2 shown]
	v_mad_u32_u24 v28, 0xa0, v69, v68
	ds_write_b128 v28, v[0:3]
	ds_write_b128 v28, v[4:7] offset:16
	ds_write_b128 v28, v[8:11] offset:32
	;; [unrolled: 1-line block ×10, first 2 shown]
	v_lshl_add_u32 v8, v47, 4, v30
	v_lshl_add_u32 v9, v46, 4, v30
	;; [unrolled: 1-line block ×4, first 2 shown]
	s_waitcnt lgkmcnt(0)
	s_barrier
	buffer_gl0_inv
	ds_read_b128 v[0:3], v67
	ds_read_b128 v[4:7], v68 offset:2816
	ds_read_b128 v[40:43], v8
	ds_read_b128 v[24:27], v9
	ds_read_b128 v[16:19], v68 offset:3328
	ds_read_b128 v[8:11], v68 offset:3840
	ds_read_b128 v[48:51], v12
	ds_read_b128 v[28:31], v13
	ds_read_b128 v[20:23], v68 offset:4352
	ds_read_b128 v[12:15], v68 offset:4864
	v_cmp_gt_u32_e64 s0, 16, v69
                                        ; implicit-def: $vgpr34_vgpr35
	s_and_saveexec_b32 s1, s0
	s_cbranch_execz .LBB0_15
; %bb.14:
	v_lshlrev_b32_e32 v32, 4, v53
	v_add3_u32 v32, 0, v32, v52
	ds_read_b128 v[36:39], v32
	ds_read_b128 v[32:35], v68 offset:5376
.LBB0_15:
	s_or_b32 exec_lo, exec_lo, s1
	v_mul_lo_u16 v54, v69, 24
	v_and_b32_e32 v55, 0xff, v47
	v_and_b32_e32 v56, 0xff, v46
	;; [unrolled: 1-line block ×4, first 2 shown]
	v_lshrrev_b16 v94, 8, v54
	v_mul_lo_u16 v55, 0x75, v55
	v_and_b32_e32 v54, 0xff, v44
	v_mul_lo_u16 v56, 0x75, v56
	v_mul_lo_u16 v57, 0x75, v57
	v_mul_lo_u16 v59, v94, 11
	v_lshrrev_b16 v55, 8, v55
	v_mul_lo_u16 v54, 0x75, v54
	v_lshrrev_b16 v56, 8, v56
	v_mul_lo_u16 v58, 0x75, v58
	v_mov_b32_e32 v63, 4
	v_sub_nc_u16 v59, v69, v59
	v_lshrrev_b16 v57, 8, v57
	v_sub_nc_u16 v60, v47, v55
	v_sub_nc_u16 v61, v46, v56
	v_lshrrev_b16 v54, 8, v54
	v_lshrrev_b16 v58, 8, v58
	v_lshlrev_b32_sdwa v95, v63, v59 dst_sel:DWORD dst_unused:UNUSED_PAD src0_sel:DWORD src1_sel:BYTE_0
	v_lshrrev_b16 v59, 1, v60
	v_sub_nc_u16 v60, v45, v57
	v_lshrrev_b16 v61, 1, v61
	v_sub_nc_u16 v62, v44, v54
	v_sub_nc_u16 v70, v53, v58
	v_and_b32_e32 v59, 0x7f, v59
	v_lshrrev_b16 v60, 1, v60
	v_and_b32_e32 v61, 0x7f, v61
	v_lshrrev_b16 v62, 1, v62
	v_lshrrev_b16 v70, 1, v70
	v_add_nc_u16 v55, v59, v55
	v_and_b32_e32 v59, 0x7f, v60
	v_add_nc_u16 v56, v61, v56
	v_and_b32_e32 v60, 0x7f, v62
	v_and_b32_e32 v61, 0x7f, v70
	v_lshrrev_b16 v96, 3, v55
	v_add_nc_u16 v55, v59, v57
	v_lshrrev_b16 v97, 3, v56
	v_add_nc_u16 v54, v60, v54
	v_add_nc_u16 v56, v61, v58
	v_mul_lo_u16 v57, v96, 11
	v_lshrrev_b16 v98, 3, v55
	v_mul_lo_u16 v55, v97, 11
	v_lshrrev_b16 v99, 3, v54
	v_lshrrev_b16 v54, 3, v56
	v_sub_nc_u16 v47, v47, v57
	v_mul_lo_u16 v56, v98, 11
	v_sub_nc_u16 v46, v46, v55
	v_mul_lo_u16 v55, v99, 11
	v_mul_lo_u16 v57, v54, 11
	v_lshlrev_b32_sdwa v100, v63, v47 dst_sel:DWORD dst_unused:UNUSED_PAD src0_sel:DWORD src1_sel:BYTE_0
	v_sub_nc_u16 v56, v45, v56
	v_lshlrev_b32_sdwa v101, v63, v46 dst_sel:DWORD dst_unused:UNUSED_PAD src0_sel:DWORD src1_sel:BYTE_0
	v_sub_nc_u16 v59, v44, v55
	v_sub_nc_u16 v53, v53, v57
	global_load_dwordx4 v[44:47], v95, s[8:9]
	v_lshlrev_b32_sdwa v102, v63, v56 dst_sel:DWORD dst_unused:UNUSED_PAD src0_sel:DWORD src1_sel:BYTE_0
	global_load_dwordx4 v[55:58], v100, s[8:9]
	v_lshlrev_b32_sdwa v103, v63, v59 dst_sel:DWORD dst_unused:UNUSED_PAD src0_sel:DWORD src1_sel:BYTE_0
	v_lshlrev_b32_sdwa v53, v63, v53 dst_sel:DWORD dst_unused:UNUSED_PAD src0_sel:DWORD src1_sel:BYTE_0
	s_clause 0x3
	global_load_dwordx4 v[59:62], v101, s[8:9]
	global_load_dwordx4 v[70:73], v102, s[8:9]
	;; [unrolled: 1-line block ×4, first 2 shown]
	s_waitcnt vmcnt(0) lgkmcnt(0)
	s_barrier
	buffer_gl0_inv
	v_mul_f64 v[82:83], v[6:7], v[46:47]
	v_mul_f64 v[46:47], v[4:5], v[46:47]
	;; [unrolled: 1-line block ×12, first 2 shown]
	v_fma_f64 v[4:5], v[4:5], v[44:45], v[82:83]
	v_fma_f64 v[6:7], v[6:7], v[44:45], -v[46:47]
	v_fma_f64 v[16:17], v[16:17], v[55:56], v[84:85]
	v_fma_f64 v[18:19], v[18:19], v[55:56], -v[57:58]
	v_and_b32_e32 v55, 0xffff, v94
	v_fma_f64 v[8:9], v[8:9], v[59:60], v[86:87]
	v_fma_f64 v[10:11], v[10:11], v[59:60], -v[61:62]
	v_fma_f64 v[20:21], v[20:21], v[70:71], v[88:89]
	v_fma_f64 v[22:23], v[22:23], v[70:71], -v[72:73]
	;; [unrolled: 2-line block ×4, first 2 shown]
	v_and_b32_e32 v56, 0xffff, v96
	v_and_b32_e32 v57, 0xffff, v97
	;; [unrolled: 1-line block ×4, first 2 shown]
	v_add_f64 v[4:5], v[0:1], -v[4:5]
	v_add_f64 v[6:7], v[2:3], -v[6:7]
	;; [unrolled: 1-line block ×12, first 2 shown]
	v_mad_u32_u24 v44, 0x160, v55, 0
	v_add3_u32 v55, v44, v95, v52
	v_fma_f64 v[0:1], v[0:1], 2.0, -v[4:5]
	v_fma_f64 v[2:3], v[2:3], 2.0, -v[6:7]
	;; [unrolled: 1-line block ×12, first 2 shown]
	v_mad_u32_u24 v48, 0x160, v56, 0
	v_mad_u32_u24 v49, 0x160, v57, 0
	v_mad_u32_u24 v50, 0x160, v58, 0
	v_mad_u32_u24 v51, 0x160, v59, 0
	v_add3_u32 v48, v48, v100, v52
	v_add3_u32 v49, v49, v101, v52
	;; [unrolled: 1-line block ×4, first 2 shown]
	ds_write_b128 v55, v[4:7] offset:176
	ds_write_b128 v55, v[0:3]
	ds_write_b128 v48, v[16:19] offset:176
	ds_write_b128 v48, v[44:47]
	ds_write_b128 v49, v[24:27]
	ds_write_b128 v49, v[8:11] offset:176
	ds_write_b128 v50, v[40:43]
	ds_write_b128 v50, v[12:15] offset:176
	;; [unrolled: 2-line block ×3, first 2 shown]
	s_and_saveexec_b32 s1, s0
	s_cbranch_execz .LBB0_17
; %bb.16:
	v_and_b32_e32 v48, 0xffff, v54
	v_mad_u32_u24 v48, 0x160, v48, 0
	v_add3_u32 v48, v48, v53, v52
	ds_write_b128 v48, v[36:39]
	ds_write_b128 v48, v[32:35] offset:176
.LBB0_17:
	s_or_b32 exec_lo, exec_lo, s1
	v_cmp_gt_u32_e64 s0, 22, v69
	s_waitcnt lgkmcnt(0)
	s_barrier
	buffer_gl0_inv
                                        ; implicit-def: $vgpr50_vgpr51
                                        ; implicit-def: $vgpr54_vgpr55
                                        ; implicit-def: $vgpr62_vgpr63
                                        ; implicit-def: $vgpr58_vgpr59
	s_and_saveexec_b32 s1, s0
	s_cbranch_execz .LBB0_19
; %bb.18:
	ds_read_b128 v[0:3], v67
	ds_read_b128 v[4:7], v68 offset:352
	ds_read_b128 v[44:47], v68 offset:704
	;; [unrolled: 1-line block ×15, first 2 shown]
.LBB0_19:
	s_or_b32 exec_lo, exec_lo, s1
	s_waitcnt lgkmcnt(0)
	s_barrier
	buffer_gl0_inv
	s_and_saveexec_b32 s10, s0
	s_cbranch_execz .LBB0_21
; %bb.20:
	v_subrev_nc_u32_e32 v70, 22, v69
	s_mov_b32 s5, 0xbfe6a09e
	s_mov_b32 s6, 0xcf328d46
	;; [unrolled: 1-line block ×4, first 2 shown]
	v_cndmask_b32_e64 v69, v70, v69, s0
	v_mov_b32_e32 v70, 0
	s_mov_b32 s15, 0xbfed906b
	s_mov_b32 s14, s6
	v_mul_i32_i24_e32 v69, 15, v69
	v_lshlrev_b64 v[69:70], 4, v[69:70]
	v_add_co_u32 v125, s0, s8, v69
	v_add_co_ci_u32_e64 v126, s0, s9, v70, s0
	s_mov_b32 s0, 0x667f3bcd
	s_mov_b32 s1, 0x3fe6a09e
	;; [unrolled: 1-line block ×3, first 2 shown]
	s_clause 0xe
	global_load_dwordx4 v[69:72], v[125:126], off offset:192
	global_load_dwordx4 v[73:76], v[125:126], off offset:320
	;; [unrolled: 1-line block ×15, first 2 shown]
	s_mov_b32 s8, 0xa6aea964
	s_mov_b32 s9, 0xbfd87de2
	;; [unrolled: 1-line block ×3, first 2 shown]
	s_waitcnt vmcnt(14)
	v_mul_f64 v[129:130], v[44:45], v[71:72]
	v_mul_f64 v[71:72], v[46:47], v[71:72]
	s_waitcnt vmcnt(13)
	v_mul_f64 v[131:132], v[36:37], v[75:76]
	v_mul_f64 v[75:76], v[38:39], v[75:76]
	;; [unrolled: 3-line block ×3, first 2 shown]
	s_waitcnt vmcnt(11)
	v_mul_f64 v[135:136], v[62:63], v[83:84]
	v_fma_f64 v[46:47], v[46:47], v[69:70], -v[129:130]
	v_fma_f64 v[44:45], v[44:45], v[69:70], v[71:72]
	v_mul_f64 v[69:70], v[60:61], v[83:84]
	s_waitcnt vmcnt(10)
	v_mul_f64 v[71:72], v[16:17], v[87:88]
	v_mul_f64 v[83:84], v[18:19], v[87:88]
	s_waitcnt vmcnt(9)
	v_mul_f64 v[87:88], v[32:33], v[91:92]
	v_fma_f64 v[38:39], v[38:39], v[73:74], -v[131:132]
	v_fma_f64 v[36:37], v[36:37], v[73:74], v[75:76]
	v_mul_f64 v[73:74], v[34:35], v[91:92]
	s_waitcnt vmcnt(8)
	v_mul_f64 v[75:76], v[14:15], v[95:96]
	v_mul_f64 v[91:92], v[12:13], v[95:96]
	s_waitcnt vmcnt(7)
	v_mul_f64 v[95:96], v[58:59], v[99:100]
	v_fma_f64 v[40:41], v[40:41], v[77:78], v[133:134]
	v_fma_f64 v[42:43], v[42:43], v[77:78], -v[79:80]
	v_mul_f64 v[77:78], v[56:57], v[99:100]
	s_waitcnt vmcnt(6)
	v_mul_f64 v[79:80], v[28:29], v[103:104]
	s_waitcnt vmcnt(5)
	;; [unrolled: 2-line block ×3, first 2 shown]
	v_mul_f64 v[129:130], v[50:51], v[111:112]
	v_fma_f64 v[60:61], v[60:61], v[81:82], v[135:136]
	s_waitcnt vmcnt(1)
	v_mul_f64 v[131:132], v[10:11], v[123:124]
	s_waitcnt vmcnt(0)
	v_mul_f64 v[133:134], v[54:55], v[127:128]
	v_fma_f64 v[62:63], v[62:63], v[81:82], -v[69:70]
	v_mul_f64 v[69:70], v[4:5], v[115:116]
	v_mul_f64 v[81:82], v[20:21], v[119:120]
	v_fma_f64 v[18:19], v[18:19], v[85:86], -v[71:72]
	v_fma_f64 v[16:17], v[16:17], v[85:86], v[83:84]
	v_mul_f64 v[71:72], v[6:7], v[115:116]
	v_mul_f64 v[83:84], v[22:23], v[119:120]
	v_mul_f64 v[85:86], v[8:9], v[123:124]
	v_mul_f64 v[115:116], v[52:53], v[127:128]
	v_fma_f64 v[34:35], v[34:35], v[89:90], -v[87:88]
	v_fma_f64 v[32:33], v[32:33], v[89:90], v[73:74]
	v_mul_f64 v[73:74], v[24:25], v[107:108]
	v_mul_f64 v[87:88], v[48:49], v[111:112]
	;; [unrolled: 1-line block ×3, first 2 shown]
	v_fma_f64 v[12:13], v[12:13], v[93:94], v[75:76]
	v_fma_f64 v[14:15], v[14:15], v[93:94], -v[91:92]
	v_fma_f64 v[56:57], v[56:57], v[97:98], v[95:96]
	v_fma_f64 v[30:31], v[30:31], v[101:102], -v[79:80]
	v_fma_f64 v[24:25], v[24:25], v[105:106], v[99:100]
	v_fma_f64 v[48:49], v[48:49], v[109:110], v[129:130]
	;; [unrolled: 1-line block ×4, first 2 shown]
	v_fma_f64 v[58:59], v[58:59], v[97:98], -v[77:78]
	v_fma_f64 v[6:7], v[6:7], v[113:114], -v[69:70]
	;; [unrolled: 1-line block ×3, first 2 shown]
	v_add_f64 v[38:39], v[46:47], -v[38:39]
	v_add_f64 v[60:61], v[40:41], -v[60:61]
	v_fma_f64 v[4:5], v[4:5], v[113:114], v[71:72]
	v_fma_f64 v[20:21], v[20:21], v[117:118], v[83:84]
	v_fma_f64 v[10:11], v[10:11], v[121:122], -v[85:86]
	v_fma_f64 v[54:55], v[54:55], v[125:126], -v[115:116]
	v_add_f64 v[36:37], v[44:45], -v[36:37]
	v_add_f64 v[62:63], v[42:43], -v[62:63]
	v_fma_f64 v[26:27], v[26:27], v[105:106], -v[73:74]
	v_fma_f64 v[50:51], v[50:51], v[109:110], -v[87:88]
	v_fma_f64 v[28:29], v[28:29], v[101:102], v[89:90]
	v_add_f64 v[34:35], v[18:19], -v[34:35]
	v_add_f64 v[32:33], v[16:17], -v[32:33]
	;; [unrolled: 1-line block ×8, first 2 shown]
	v_fma_f64 v[46:47], v[46:47], 2.0, -v[38:39]
	v_add_f64 v[69:70], v[38:39], -v[60:61]
	v_fma_f64 v[40:41], v[40:41], 2.0, -v[60:61]
	v_add_f64 v[20:21], v[4:5], -v[20:21]
	v_add_f64 v[54:55], v[10:11], -v[54:55]
	v_fma_f64 v[44:45], v[44:45], 2.0, -v[36:37]
	v_add_f64 v[73:74], v[36:37], v[62:63]
	v_fma_f64 v[42:43], v[42:43], 2.0, -v[62:63]
	v_add_f64 v[50:51], v[26:27], -v[50:51]
	v_add_f64 v[28:29], v[0:1], -v[28:29]
	v_fma_f64 v[18:19], v[18:19], 2.0, -v[34:35]
	v_fma_f64 v[16:17], v[16:17], 2.0, -v[32:33]
	v_add_f64 v[77:78], v[34:35], -v[56:57]
	v_fma_f64 v[2:3], v[2:3], 2.0, -v[30:31]
	v_fma_f64 v[12:13], v[12:13], 2.0, -v[56:57]
	;; [unrolled: 3-line block ×3, first 2 shown]
	v_add_f64 v[79:80], v[32:33], v[58:59]
	v_fma_f64 v[14:15], v[14:15], 2.0, -v[58:59]
	v_add_f64 v[75:76], v[22:23], -v[52:53]
	v_fma_f64 v[6:7], v[6:7], 2.0, -v[22:23]
	v_fma_f64 v[38:39], v[38:39], 2.0, -v[69:70]
	;; [unrolled: 1-line block ×3, first 2 shown]
	v_add_f64 v[81:82], v[20:21], v[54:55]
	v_fma_f64 v[10:11], v[10:11], 2.0, -v[54:55]
	v_fma_f64 v[36:37], v[36:37], 2.0, -v[73:74]
	v_add_f64 v[42:43], v[46:47], -v[42:43]
	v_fma_f64 v[26:27], v[26:27], 2.0, -v[50:51]
	v_add_f64 v[83:84], v[28:29], v[50:51]
	v_fma_f64 v[0:1], v[0:1], 2.0, -v[28:29]
	v_add_f64 v[40:41], v[44:45], -v[40:41]
	v_fma_f64 v[34:35], v[34:35], 2.0, -v[77:78]
	v_add_f64 v[12:13], v[16:17], -v[12:13]
	v_fma_f64 v[30:31], v[30:31], 2.0, -v[71:72]
	v_fma_f64 v[48:49], v[69:70], s[0:1], v[71:72]
	v_fma_f64 v[32:33], v[32:33], 2.0, -v[79:80]
	v_add_f64 v[14:15], v[18:19], -v[14:15]
	v_fma_f64 v[22:23], v[22:23], 2.0, -v[75:76]
	v_fma_f64 v[50:51], v[77:78], s[0:1], v[75:76]
	v_add_f64 v[8:9], v[4:5], -v[8:9]
	v_fma_f64 v[20:21], v[20:21], 2.0, -v[81:82]
	v_add_f64 v[10:11], v[6:7], -v[10:11]
	v_fma_f64 v[52:53], v[79:80], s[0:1], v[81:82]
	v_fma_f64 v[46:47], v[46:47], 2.0, -v[42:43]
	v_add_f64 v[26:27], v[2:3], -v[26:27]
	v_fma_f64 v[28:29], v[28:29], 2.0, -v[83:84]
	v_add_f64 v[24:25], v[0:1], -v[24:25]
	v_fma_f64 v[54:55], v[73:74], s[0:1], v[83:84]
	v_fma_f64 v[44:45], v[44:45], 2.0, -v[40:41]
	v_fma_f64 v[16:17], v[16:17], 2.0, -v[12:13]
	v_fma_f64 v[56:57], v[38:39], s[4:5], v[30:31]
	v_fma_f64 v[48:49], v[73:74], s[4:5], v[48:49]
	v_fma_f64 v[18:19], v[18:19], 2.0, -v[14:15]
	v_fma_f64 v[58:59], v[34:35], s[4:5], v[22:23]
	v_fma_f64 v[50:51], v[79:80], s[4:5], v[50:51]
	v_fma_f64 v[4:5], v[4:5], 2.0, -v[8:9]
	v_add_f64 v[14:15], v[8:9], v[14:15]
	v_fma_f64 v[60:61], v[32:33], s[4:5], v[20:21]
	v_fma_f64 v[6:7], v[6:7], 2.0, -v[10:11]
	v_add_f64 v[12:13], v[10:11], -v[12:13]
	v_fma_f64 v[52:53], v[77:78], s[0:1], v[52:53]
	v_fma_f64 v[2:3], v[2:3], 2.0, -v[26:27]
	v_fma_f64 v[62:63], v[36:37], s[4:5], v[28:29]
	v_fma_f64 v[0:1], v[0:1], 2.0, -v[24:25]
	v_add_f64 v[40:41], v[26:27], -v[40:41]
	v_fma_f64 v[54:55], v[69:70], s[0:1], v[54:55]
	v_add_f64 v[69:70], v[24:25], v[42:43]
	v_fma_f64 v[56:57], v[36:37], s[4:5], v[56:57]
	v_fma_f64 v[32:33], v[32:33], s[4:5], v[58:59]
	v_fma_f64 v[58:59], v[71:72], 2.0, -v[48:49]
	v_add_f64 v[16:17], v[4:5], -v[16:17]
	v_fma_f64 v[34:35], v[34:35], s[0:1], v[60:61]
	v_add_f64 v[18:19], v[6:7], -v[18:19]
	v_fma_f64 v[42:43], v[10:11], 2.0, -v[12:13]
	v_add_f64 v[36:37], v[2:3], -v[46:47]
	v_fma_f64 v[60:61], v[38:39], s[0:1], v[62:63]
	v_add_f64 v[44:45], v[0:1], -v[44:45]
	v_fma_f64 v[38:39], v[75:76], 2.0, -v[50:51]
	v_fma_f64 v[62:63], v[26:27], 2.0, -v[40:41]
	;; [unrolled: 1-line block ×7, first 2 shown]
	v_fma_f64 v[8:9], v[50:51], s[6:7], v[48:49]
	v_fma_f64 v[10:11], v[12:13], s[0:1], v[40:41]
	v_fma_f64 v[77:78], v[22:23], 2.0, -v[32:33]
	v_fma_f64 v[22:23], v[14:15], s[0:1], v[69:70]
	v_fma_f64 v[24:25], v[32:33], s[12:13], v[56:57]
	v_fma_f64 v[89:90], v[4:5], 2.0, -v[16:17]
	v_fma_f64 v[30:31], v[20:21], 2.0, -v[34:35]
	v_fma_f64 v[20:21], v[52:53], s[6:7], v[54:55]
	v_fma_f64 v[85:86], v[6:7], 2.0, -v[18:19]
	v_fma_f64 v[83:84], v[2:3], 2.0, -v[36:37]
	;; [unrolled: 1-line block ×4, first 2 shown]
	v_fma_f64 v[28:29], v[38:39], s[8:9], v[58:59]
	v_fma_f64 v[81:82], v[42:43], s[4:5], v[62:63]
	;; [unrolled: 1-line block ×8, first 2 shown]
	v_add_f64 v[10:11], v[36:37], -v[16:17]
	v_add_f64 v[8:9], v[44:45], v[18:19]
	v_fma_f64 v[4:5], v[12:13], s[0:1], v[22:23]
	v_fma_f64 v[14:15], v[34:35], s[14:15], v[24:25]
	;; [unrolled: 1-line block ×4, first 2 shown]
	v_add_f64 v[24:25], v[87:88], -v[89:90]
	v_fma_f64 v[18:19], v[26:27], s[14:15], v[28:29]
	v_add_f64 v[26:27], v[83:84], -v[85:86]
	v_fma_f64 v[22:23], v[46:47], s[4:5], v[81:82]
	v_fma_f64 v[20:21], v[42:43], s[0:1], v[91:92]
	;; [unrolled: 1-line block ×4, first 2 shown]
	v_fma_f64 v[34:35], v[48:49], 2.0, -v[2:3]
	v_fma_f64 v[38:39], v[40:41], 2.0, -v[6:7]
	v_fma_f64 v[30:31], v[30:31], s[8:9], v[97:98]
	v_fma_f64 v[42:43], v[36:37], 2.0, -v[10:11]
	v_fma_f64 v[40:41], v[44:45], 2.0, -v[8:9]
	;; [unrolled: 1-line block ×5, first 2 shown]
	v_fma_f64 v[28:29], v[77:78], s[12:13], v[99:100]
	v_fma_f64 v[56:57], v[87:88], 2.0, -v[24:25]
	v_fma_f64 v[50:51], v[58:59], 2.0, -v[18:19]
	;; [unrolled: 1-line block ×9, first 2 shown]
	ds_write_b128 v68, v[8:11] offset:4224
	ds_write_b128 v68, v[4:7] offset:4928
	;; [unrolled: 1-line block ×9, first 2 shown]
	ds_write_b128 v67, v[56:59]
	ds_write_b128 v68, v[52:55] offset:704
	ds_write_b128 v68, v[48:51] offset:1056
	;; [unrolled: 1-line block ×6, first 2 shown]
.LBB0_21:
	s_or_b32 exec_lo, exec_lo, s10
	s_waitcnt lgkmcnt(0)
	s_barrier
	buffer_gl0_inv
	s_and_saveexec_b32 s0, vcc_lo
	s_cbranch_execz .LBB0_23
; %bb.22:
	ds_read_b128 v[0:3], v67
	ds_read_b128 v[4:7], v67 offset:512
	v_add_co_u32 v28, vcc_lo, s2, v64
	ds_read_b128 v[8:11], v67 offset:1024
	ds_read_b128 v[12:15], v67 offset:1536
	;; [unrolled: 1-line block ×4, first 2 shown]
	v_add_co_ci_u32_e32 v29, vcc_lo, s3, v65, vcc_lo
	v_add_co_u32 v24, vcc_lo, v28, v66
	v_or_b32_e32 v26, 0x800, v66
	v_add_co_ci_u32_e32 v25, vcc_lo, 0, v29, vcc_lo
	v_or_b32_e32 v27, 0xa00, v66
	v_or_b32_e32 v30, 0x1400, v66
	s_waitcnt lgkmcnt(5)
	global_store_dwordx4 v[24:25], v[0:3], off
	s_waitcnt lgkmcnt(4)
	global_store_dwordx4 v[24:25], v[4:7], off offset:512
	v_add_co_u32 v0, vcc_lo, v28, v26
	v_add_co_ci_u32_e32 v1, vcc_lo, 0, v29, vcc_lo
	v_add_co_u32 v2, vcc_lo, v28, v27
	v_or_b32_e32 v4, 0xc00, v66
	v_add_co_ci_u32_e32 v3, vcc_lo, 0, v29, vcc_lo
	s_waitcnt lgkmcnt(3)
	global_store_dwordx4 v[24:25], v[8:11], off offset:1024
	s_waitcnt lgkmcnt(2)
	global_store_dwordx4 v[24:25], v[12:15], off offset:1536
	s_waitcnt lgkmcnt(1)
	global_store_dwordx4 v[0:1], v[16:19], off
	s_waitcnt lgkmcnt(0)
	global_store_dwordx4 v[2:3], v[20:23], off
	v_add_co_u32 v20, vcc_lo, v28, v4
	ds_read_b128 v[0:3], v67 offset:3072
	ds_read_b128 v[4:7], v67 offset:3584
	;; [unrolled: 1-line block ×5, first 2 shown]
	v_or_b32_e32 v22, 0xe00, v66
	v_or_b32_e32 v24, 0x1000, v66
	v_add_co_ci_u32_e32 v21, vcc_lo, 0, v29, vcc_lo
	v_or_b32_e32 v26, 0x1200, v66
	v_add_co_u32 v22, vcc_lo, v28, v22
	v_add_co_ci_u32_e32 v23, vcc_lo, 0, v29, vcc_lo
	v_add_co_u32 v24, vcc_lo, v28, v24
	v_add_co_ci_u32_e32 v25, vcc_lo, 0, v29, vcc_lo
	v_add_co_u32 v26, vcc_lo, v28, v26
	v_add_co_ci_u32_e32 v27, vcc_lo, 0, v29, vcc_lo
	v_add_co_u32 v28, vcc_lo, v28, v30
	v_add_co_ci_u32_e32 v29, vcc_lo, 0, v29, vcc_lo
	s_waitcnt lgkmcnt(4)
	global_store_dwordx4 v[20:21], v[0:3], off
	s_waitcnt lgkmcnt(3)
	global_store_dwordx4 v[22:23], v[4:7], off
	;; [unrolled: 2-line block ×5, first 2 shown]
.LBB0_23:
	s_endpgm
	.section	.rodata,"a",@progbits
	.p2align	6, 0x0
	.amdhsa_kernel fft_rtc_back_len352_factors_11_2_16_wgs_64_tpt_32_dp_ip_CI_unitstride_sbrr_dirReg
		.amdhsa_group_segment_fixed_size 0
		.amdhsa_private_segment_fixed_size 0
		.amdhsa_kernarg_size 88
		.amdhsa_user_sgpr_count 6
		.amdhsa_user_sgpr_private_segment_buffer 1
		.amdhsa_user_sgpr_dispatch_ptr 0
		.amdhsa_user_sgpr_queue_ptr 0
		.amdhsa_user_sgpr_kernarg_segment_ptr 1
		.amdhsa_user_sgpr_dispatch_id 0
		.amdhsa_user_sgpr_flat_scratch_init 0
		.amdhsa_user_sgpr_private_segment_size 0
		.amdhsa_wavefront_size32 1
		.amdhsa_uses_dynamic_stack 0
		.amdhsa_system_sgpr_private_segment_wavefront_offset 0
		.amdhsa_system_sgpr_workgroup_id_x 1
		.amdhsa_system_sgpr_workgroup_id_y 0
		.amdhsa_system_sgpr_workgroup_id_z 0
		.amdhsa_system_sgpr_workgroup_info 0
		.amdhsa_system_vgpr_workitem_id 0
		.amdhsa_next_free_vgpr 137
		.amdhsa_next_free_sgpr 36
		.amdhsa_reserve_vcc 1
		.amdhsa_reserve_flat_scratch 0
		.amdhsa_float_round_mode_32 0
		.amdhsa_float_round_mode_16_64 0
		.amdhsa_float_denorm_mode_32 3
		.amdhsa_float_denorm_mode_16_64 3
		.amdhsa_dx10_clamp 1
		.amdhsa_ieee_mode 1
		.amdhsa_fp16_overflow 0
		.amdhsa_workgroup_processor_mode 1
		.amdhsa_memory_ordered 1
		.amdhsa_forward_progress 0
		.amdhsa_shared_vgpr_count 0
		.amdhsa_exception_fp_ieee_invalid_op 0
		.amdhsa_exception_fp_denorm_src 0
		.amdhsa_exception_fp_ieee_div_zero 0
		.amdhsa_exception_fp_ieee_overflow 0
		.amdhsa_exception_fp_ieee_underflow 0
		.amdhsa_exception_fp_ieee_inexact 0
		.amdhsa_exception_int_div_zero 0
	.end_amdhsa_kernel
	.text
.Lfunc_end0:
	.size	fft_rtc_back_len352_factors_11_2_16_wgs_64_tpt_32_dp_ip_CI_unitstride_sbrr_dirReg, .Lfunc_end0-fft_rtc_back_len352_factors_11_2_16_wgs_64_tpt_32_dp_ip_CI_unitstride_sbrr_dirReg
                                        ; -- End function
	.section	.AMDGPU.csdata,"",@progbits
; Kernel info:
; codeLenInByte = 8580
; NumSgprs: 38
; NumVgprs: 137
; ScratchSize: 0
; MemoryBound: 0
; FloatMode: 240
; IeeeMode: 1
; LDSByteSize: 0 bytes/workgroup (compile time only)
; SGPRBlocks: 4
; VGPRBlocks: 17
; NumSGPRsForWavesPerEU: 38
; NumVGPRsForWavesPerEU: 137
; Occupancy: 7
; WaveLimiterHint : 1
; COMPUTE_PGM_RSRC2:SCRATCH_EN: 0
; COMPUTE_PGM_RSRC2:USER_SGPR: 6
; COMPUTE_PGM_RSRC2:TRAP_HANDLER: 0
; COMPUTE_PGM_RSRC2:TGID_X_EN: 1
; COMPUTE_PGM_RSRC2:TGID_Y_EN: 0
; COMPUTE_PGM_RSRC2:TGID_Z_EN: 0
; COMPUTE_PGM_RSRC2:TIDIG_COMP_CNT: 0
	.text
	.p2alignl 6, 3214868480
	.fill 48, 4, 3214868480
	.type	__hip_cuid_4173f3009294252a,@object ; @__hip_cuid_4173f3009294252a
	.section	.bss,"aw",@nobits
	.globl	__hip_cuid_4173f3009294252a
__hip_cuid_4173f3009294252a:
	.byte	0                               ; 0x0
	.size	__hip_cuid_4173f3009294252a, 1

	.ident	"AMD clang version 19.0.0git (https://github.com/RadeonOpenCompute/llvm-project roc-6.4.0 25133 c7fe45cf4b819c5991fe208aaa96edf142730f1d)"
	.section	".note.GNU-stack","",@progbits
	.addrsig
	.addrsig_sym __hip_cuid_4173f3009294252a
	.amdgpu_metadata
---
amdhsa.kernels:
  - .args:
      - .actual_access:  read_only
        .address_space:  global
        .offset:         0
        .size:           8
        .value_kind:     global_buffer
      - .offset:         8
        .size:           8
        .value_kind:     by_value
      - .actual_access:  read_only
        .address_space:  global
        .offset:         16
        .size:           8
        .value_kind:     global_buffer
      - .actual_access:  read_only
        .address_space:  global
        .offset:         24
        .size:           8
        .value_kind:     global_buffer
      - .offset:         32
        .size:           8
        .value_kind:     by_value
      - .actual_access:  read_only
        .address_space:  global
        .offset:         40
        .size:           8
        .value_kind:     global_buffer
      - .actual_access:  read_only
        .address_space:  global
        .offset:         48
        .size:           8
        .value_kind:     global_buffer
      - .offset:         56
        .size:           4
        .value_kind:     by_value
      - .actual_access:  read_only
        .address_space:  global
        .offset:         64
        .size:           8
        .value_kind:     global_buffer
      - .actual_access:  read_only
        .address_space:  global
        .offset:         72
        .size:           8
        .value_kind:     global_buffer
      - .address_space:  global
        .offset:         80
        .size:           8
        .value_kind:     global_buffer
    .group_segment_fixed_size: 0
    .kernarg_segment_align: 8
    .kernarg_segment_size: 88
    .language:       OpenCL C
    .language_version:
      - 2
      - 0
    .max_flat_workgroup_size: 64
    .name:           fft_rtc_back_len352_factors_11_2_16_wgs_64_tpt_32_dp_ip_CI_unitstride_sbrr_dirReg
    .private_segment_fixed_size: 0
    .sgpr_count:     38
    .sgpr_spill_count: 0
    .symbol:         fft_rtc_back_len352_factors_11_2_16_wgs_64_tpt_32_dp_ip_CI_unitstride_sbrr_dirReg.kd
    .uniform_work_group_size: 1
    .uses_dynamic_stack: false
    .vgpr_count:     137
    .vgpr_spill_count: 0
    .wavefront_size: 32
    .workgroup_processor_mode: 1
amdhsa.target:   amdgcn-amd-amdhsa--gfx1030
amdhsa.version:
  - 1
  - 2
...

	.end_amdgpu_metadata
